;; amdgpu-corpus repo=ROCm/rocFFT kind=compiled arch=gfx906 opt=O3
	.text
	.amdgcn_target "amdgcn-amd-amdhsa--gfx906"
	.amdhsa_code_object_version 6
	.protected	fft_rtc_back_len819_factors_9_7_13_wgs_117_tpt_117_half_op_CI_CI_unitstride_sbrr_dirReg ; -- Begin function fft_rtc_back_len819_factors_9_7_13_wgs_117_tpt_117_half_op_CI_CI_unitstride_sbrr_dirReg
	.globl	fft_rtc_back_len819_factors_9_7_13_wgs_117_tpt_117_half_op_CI_CI_unitstride_sbrr_dirReg
	.p2align	8
	.type	fft_rtc_back_len819_factors_9_7_13_wgs_117_tpt_117_half_op_CI_CI_unitstride_sbrr_dirReg,@function
fft_rtc_back_len819_factors_9_7_13_wgs_117_tpt_117_half_op_CI_CI_unitstride_sbrr_dirReg: ; @fft_rtc_back_len819_factors_9_7_13_wgs_117_tpt_117_half_op_CI_CI_unitstride_sbrr_dirReg
; %bb.0:
	s_load_dwordx4 s[8:11], s[4:5], 0x58
	s_load_dwordx4 s[12:15], s[4:5], 0x0
	;; [unrolled: 1-line block ×3, first 2 shown]
	v_mul_u32_u24_e32 v1, 0x231, v0
	v_add_u32_sdwa v11, s6, v1 dst_sel:DWORD dst_unused:UNUSED_PAD src0_sel:DWORD src1_sel:WORD_1
	v_mov_b32_e32 v6, 0
	s_waitcnt lgkmcnt(0)
	v_cmp_lt_u64_e64 s[0:1], s[14:15], 2
	v_mov_b32_e32 v1, 0
	v_mov_b32_e32 v12, v6
	s_and_b64 vcc, exec, s[0:1]
	v_mov_b32_e32 v2, 0
	s_cbranch_vccnz .LBB0_8
; %bb.1:
	s_load_dwordx2 s[0:1], s[4:5], 0x10
	s_add_u32 s2, s18, 8
	s_addc_u32 s3, s19, 0
	s_add_u32 s6, s16, 8
	v_mov_b32_e32 v1, 0
	s_addc_u32 s7, s17, 0
	v_mov_b32_e32 v2, 0
	s_waitcnt lgkmcnt(0)
	s_add_u32 s20, s0, 8
	v_mov_b32_e32 v5, v2
	s_addc_u32 s21, s1, 0
	s_mov_b64 s[22:23], 1
	v_mov_b32_e32 v4, v1
.LBB0_2:                                ; =>This Inner Loop Header: Depth=1
	s_load_dwordx2 s[24:25], s[20:21], 0x0
                                        ; implicit-def: $vgpr9_vgpr10
	s_waitcnt lgkmcnt(0)
	v_or_b32_e32 v7, s25, v12
	v_cmp_ne_u64_e32 vcc, 0, v[6:7]
	s_and_saveexec_b64 s[0:1], vcc
	s_xor_b64 s[26:27], exec, s[0:1]
	s_cbranch_execz .LBB0_4
; %bb.3:                                ;   in Loop: Header=BB0_2 Depth=1
	v_cvt_f32_u32_e32 v3, s24
	v_cvt_f32_u32_e32 v7, s25
	s_sub_u32 s0, 0, s24
	s_subb_u32 s1, 0, s25
	v_mac_f32_e32 v3, 0x4f800000, v7
	v_rcp_f32_e32 v3, v3
	v_mul_f32_e32 v3, 0x5f7ffffc, v3
	v_mul_f32_e32 v7, 0x2f800000, v3
	v_trunc_f32_e32 v7, v7
	v_mac_f32_e32 v3, 0xcf800000, v7
	v_cvt_u32_f32_e32 v7, v7
	v_cvt_u32_f32_e32 v3, v3
	v_mul_lo_u32 v8, s0, v7
	v_mul_hi_u32 v9, s0, v3
	v_mul_lo_u32 v13, s1, v3
	v_mul_lo_u32 v10, s0, v3
	v_add_u32_e32 v8, v9, v8
	v_add_u32_e32 v8, v8, v13
	v_mul_hi_u32 v9, v3, v10
	v_mul_lo_u32 v13, v3, v8
	v_mul_hi_u32 v15, v3, v8
	v_mul_hi_u32 v14, v7, v10
	v_mul_lo_u32 v10, v7, v10
	v_mul_hi_u32 v16, v7, v8
	v_add_co_u32_e32 v9, vcc, v9, v13
	v_addc_co_u32_e32 v13, vcc, 0, v15, vcc
	v_mul_lo_u32 v8, v7, v8
	v_add_co_u32_e32 v9, vcc, v9, v10
	v_addc_co_u32_e32 v9, vcc, v13, v14, vcc
	v_addc_co_u32_e32 v10, vcc, 0, v16, vcc
	v_add_co_u32_e32 v8, vcc, v9, v8
	v_addc_co_u32_e32 v9, vcc, 0, v10, vcc
	v_add_co_u32_e32 v3, vcc, v3, v8
	v_addc_co_u32_e32 v7, vcc, v7, v9, vcc
	v_mul_lo_u32 v8, s0, v7
	v_mul_hi_u32 v9, s0, v3
	v_mul_lo_u32 v10, s1, v3
	v_mul_lo_u32 v13, s0, v3
	v_add_u32_e32 v8, v9, v8
	v_add_u32_e32 v8, v8, v10
	v_mul_lo_u32 v14, v3, v8
	v_mul_hi_u32 v15, v3, v13
	v_mul_hi_u32 v16, v3, v8
	v_mul_hi_u32 v10, v7, v13
	v_mul_lo_u32 v13, v7, v13
	v_mul_hi_u32 v9, v7, v8
	v_add_co_u32_e32 v14, vcc, v15, v14
	v_addc_co_u32_e32 v15, vcc, 0, v16, vcc
	v_mul_lo_u32 v8, v7, v8
	v_add_co_u32_e32 v13, vcc, v14, v13
	v_addc_co_u32_e32 v10, vcc, v15, v10, vcc
	v_addc_co_u32_e32 v9, vcc, 0, v9, vcc
	v_add_co_u32_e32 v8, vcc, v10, v8
	v_addc_co_u32_e32 v9, vcc, 0, v9, vcc
	v_add_co_u32_e32 v3, vcc, v3, v8
	v_addc_co_u32_e32 v9, vcc, v7, v9, vcc
	v_mad_u64_u32 v[7:8], s[0:1], v11, v9, 0
	v_mul_hi_u32 v10, v11, v3
	v_add_co_u32_e32 v13, vcc, v10, v7
	v_addc_co_u32_e32 v14, vcc, 0, v8, vcc
	v_mad_u64_u32 v[7:8], s[0:1], v12, v3, 0
	v_mad_u64_u32 v[9:10], s[0:1], v12, v9, 0
	v_add_co_u32_e32 v3, vcc, v13, v7
	v_addc_co_u32_e32 v3, vcc, v14, v8, vcc
	v_addc_co_u32_e32 v7, vcc, 0, v10, vcc
	v_add_co_u32_e32 v3, vcc, v3, v9
	v_addc_co_u32_e32 v9, vcc, 0, v7, vcc
	v_mul_lo_u32 v10, s25, v3
	v_mul_lo_u32 v13, s24, v9
	v_mad_u64_u32 v[7:8], s[0:1], s24, v3, 0
	v_add3_u32 v8, v8, v13, v10
	v_sub_u32_e32 v10, v12, v8
	v_mov_b32_e32 v13, s25
	v_sub_co_u32_e32 v7, vcc, v11, v7
	v_subb_co_u32_e64 v10, s[0:1], v10, v13, vcc
	v_subrev_co_u32_e64 v13, s[0:1], s24, v7
	v_subbrev_co_u32_e64 v10, s[0:1], 0, v10, s[0:1]
	v_cmp_le_u32_e64 s[0:1], s25, v10
	v_cndmask_b32_e64 v14, 0, -1, s[0:1]
	v_cmp_le_u32_e64 s[0:1], s24, v13
	v_cndmask_b32_e64 v13, 0, -1, s[0:1]
	v_cmp_eq_u32_e64 s[0:1], s25, v10
	v_cndmask_b32_e64 v10, v14, v13, s[0:1]
	v_add_co_u32_e64 v13, s[0:1], 2, v3
	v_addc_co_u32_e64 v14, s[0:1], 0, v9, s[0:1]
	v_add_co_u32_e64 v15, s[0:1], 1, v3
	v_addc_co_u32_e64 v16, s[0:1], 0, v9, s[0:1]
	v_subb_co_u32_e32 v8, vcc, v12, v8, vcc
	v_cmp_ne_u32_e64 s[0:1], 0, v10
	v_cmp_le_u32_e32 vcc, s25, v8
	v_cndmask_b32_e64 v10, v16, v14, s[0:1]
	v_cndmask_b32_e64 v14, 0, -1, vcc
	v_cmp_le_u32_e32 vcc, s24, v7
	v_cndmask_b32_e64 v7, 0, -1, vcc
	v_cmp_eq_u32_e32 vcc, s25, v8
	v_cndmask_b32_e32 v7, v14, v7, vcc
	v_cmp_ne_u32_e32 vcc, 0, v7
	v_cndmask_b32_e64 v7, v15, v13, s[0:1]
	v_cndmask_b32_e32 v10, v9, v10, vcc
	v_cndmask_b32_e32 v9, v3, v7, vcc
.LBB0_4:                                ;   in Loop: Header=BB0_2 Depth=1
	s_andn2_saveexec_b64 s[0:1], s[26:27]
	s_cbranch_execz .LBB0_6
; %bb.5:                                ;   in Loop: Header=BB0_2 Depth=1
	v_cvt_f32_u32_e32 v3, s24
	s_sub_i32 s26, 0, s24
	v_mov_b32_e32 v10, v6
	v_rcp_iflag_f32_e32 v3, v3
	v_mul_f32_e32 v3, 0x4f7ffffe, v3
	v_cvt_u32_f32_e32 v3, v3
	v_mul_lo_u32 v7, s26, v3
	v_mul_hi_u32 v7, v3, v7
	v_add_u32_e32 v3, v3, v7
	v_mul_hi_u32 v3, v11, v3
	v_mul_lo_u32 v7, v3, s24
	v_add_u32_e32 v8, 1, v3
	v_sub_u32_e32 v7, v11, v7
	v_subrev_u32_e32 v9, s24, v7
	v_cmp_le_u32_e32 vcc, s24, v7
	v_cndmask_b32_e32 v7, v7, v9, vcc
	v_cndmask_b32_e32 v3, v3, v8, vcc
	v_add_u32_e32 v8, 1, v3
	v_cmp_le_u32_e32 vcc, s24, v7
	v_cndmask_b32_e32 v9, v3, v8, vcc
.LBB0_6:                                ;   in Loop: Header=BB0_2 Depth=1
	s_or_b64 exec, exec, s[0:1]
	v_mul_lo_u32 v3, v10, s24
	v_mul_lo_u32 v13, v9, s25
	v_mad_u64_u32 v[7:8], s[0:1], v9, s24, 0
	s_load_dwordx2 s[0:1], s[6:7], 0x0
	s_load_dwordx2 s[24:25], s[2:3], 0x0
	v_add3_u32 v3, v8, v13, v3
	v_sub_co_u32_e32 v7, vcc, v11, v7
	v_subb_co_u32_e32 v3, vcc, v12, v3, vcc
	s_waitcnt lgkmcnt(0)
	v_mul_lo_u32 v8, s0, v3
	v_mul_lo_u32 v11, s1, v7
	v_mad_u64_u32 v[1:2], s[0:1], s0, v7, v[1:2]
	s_add_u32 s22, s22, 1
	s_addc_u32 s23, s23, 0
	s_add_u32 s2, s2, 8
	v_mul_lo_u32 v3, s24, v3
	v_mul_lo_u32 v12, s25, v7
	v_mad_u64_u32 v[4:5], s[0:1], s24, v7, v[4:5]
	v_add3_u32 v2, v11, v2, v8
	s_addc_u32 s3, s3, 0
	v_mov_b32_e32 v7, s14
	s_add_u32 s6, s6, 8
	v_mov_b32_e32 v8, s15
	s_addc_u32 s7, s7, 0
	v_cmp_ge_u64_e32 vcc, s[22:23], v[7:8]
	s_add_u32 s20, s20, 8
	v_add3_u32 v5, v12, v5, v3
	s_addc_u32 s21, s21, 0
	s_cbranch_vccnz .LBB0_9
; %bb.7:                                ;   in Loop: Header=BB0_2 Depth=1
	v_mov_b32_e32 v12, v10
	v_mov_b32_e32 v11, v9
	s_branch .LBB0_2
.LBB0_8:
	v_mov_b32_e32 v5, v2
	v_mov_b32_e32 v9, v11
	;; [unrolled: 1-line block ×4, first 2 shown]
.LBB0_9:
	s_load_dwordx2 s[0:1], s[4:5], 0x28
	s_mov_b32 s4, 0x2302303
	v_mul_hi_u32 v3, v0, s4
	s_lshl_b64 s[2:3], s[14:15], 3
	s_add_u32 s4, s18, s2
	s_waitcnt lgkmcnt(0)
	v_cmp_gt_u64_e32 vcc, s[0:1], v[9:10]
	v_mul_u32_u24_e32 v3, 0x75, v3
	v_sub_u32_e32 v6, v0, v3
	s_movk_i32 s0, 0x5b
	v_cmp_gt_u32_e64 s[0:1], s0, v6
	s_addc_u32 s5, s19, s3
	s_and_b64 s[14:15], vcc, s[0:1]
	v_mov_b32_e32 v7, 0
	v_mov_b32_e32 v0, 0
	;; [unrolled: 1-line block ×4, first 2 shown]
                                        ; implicit-def: $vgpr3
                                        ; implicit-def: $vgpr11
                                        ; implicit-def: $vgpr12
                                        ; implicit-def: $vgpr15
                                        ; implicit-def: $vgpr14
	s_and_saveexec_b64 s[6:7], s[14:15]
	s_cbranch_execz .LBB0_11
; %bb.10:
	s_add_u32 s2, s16, s2
	s_addc_u32 s3, s17, s3
	s_load_dwordx2 s[2:3], s[2:3], 0x0
	v_mov_b32_e32 v8, s9
	v_mov_b32_e32 v7, 0
	s_waitcnt lgkmcnt(0)
	v_mul_lo_u32 v0, s3, v9
	v_mul_lo_u32 v3, s2, v10
	v_mad_u64_u32 v[11:12], s[2:3], s2, v9, 0
	v_add3_u32 v12, v12, v3, v0
	v_lshlrev_b64 v[11:12], 2, v[11:12]
	v_lshlrev_b64 v[0:1], 2, v[1:2]
	v_add_co_u32_e64 v3, s[2:3], s8, v11
	v_addc_co_u32_e64 v8, s[2:3], v8, v12, s[2:3]
	v_add_co_u32_e64 v2, s[2:3], v3, v0
	v_addc_co_u32_e64 v3, s[2:3], v8, v1, s[2:3]
	v_lshlrev_b64 v[0:1], 2, v[6:7]
	v_add_co_u32_e64 v16, s[2:3], v2, v0
	v_addc_co_u32_e64 v17, s[2:3], v3, v1, s[2:3]
	global_load_dword v3, v[16:17], off
	global_load_dword v0, v[16:17], off offset:364
	global_load_dword v13, v[16:17], off offset:728
	global_load_dword v8, v[16:17], off offset:1092
	global_load_dword v7, v[16:17], off offset:1456
	global_load_dword v11, v[16:17], off offset:1820
	global_load_dword v15, v[16:17], off offset:2184
	global_load_dword v14, v[16:17], off offset:2548
	global_load_dword v12, v[16:17], off offset:2912
.LBB0_11:
	s_or_b64 exec, exec, s[6:7]
	s_waitcnt vmcnt(0)
	v_pk_add_f16 v1, v0, v12
	v_pk_add_f16 v12, v0, v12 neg_lo:[0,1] neg_hi:[0,1]
	s_movk_i32 s2, 0x3924
	v_pk_add_f16 v2, v13, v14
	v_pk_add_f16 v14, v13, v14 neg_lo:[0,1] neg_hi:[0,1]
	v_pk_mul_f16 v0, v12, s2 op_sel_hi:[1,0]
	s_movk_i32 s3, 0x3be1
	s_movk_i32 s7, 0x3a21
	v_pk_add_f16 v16, v8, v15
	v_pk_add_f16 v17, v8, v15 neg_lo:[0,1] neg_hi:[0,1]
	s_movk_i32 s14, 0x3aee
	v_pk_fma_f16 v0, v14, s3, v0 op_sel_hi:[1,0,1]
	v_pk_fma_f16 v8, v1, s7, v3 op_sel_hi:[1,0,1]
	s_movk_i32 s8, 0x318f
	v_pk_add_f16 v15, v7, v11 neg_lo:[0,1] neg_hi:[0,1]
	v_pk_fma_f16 v8, v2, s8, v8 op_sel_hi:[1,0,1]
	v_pk_fma_f16 v0, v17, s14, v0 op_sel_hi:[1,0,1]
	s_movk_i32 s9, 0x3579
	v_pk_add_f16 v13, v7, v11
	v_pk_fma_f16 v20, v15, s9, v0 op_sel_hi:[1,0,1]
	v_pk_fma_f16 v0, v16, 0.5, v8 op_sel_hi:[1,0,1] neg_lo:[1,0,0] neg_hi:[1,0,0]
	s_movk_i32 s15, 0x3b84
	v_pk_fma_f16 v0, v13, s15, v0 op_sel_hi:[1,0,1] neg_lo:[1,0,0] neg_hi:[1,0,0]
	v_pk_add_f16 v18, v0, v20 op_sel:[1,0] op_sel_hi:[0,1] neg_lo:[0,1] neg_hi:[0,1]
	v_pk_add_f16 v19, v0, v20 op_sel:[1,0] op_sel_hi:[0,1]
	s_mov_b32 s6, 0xffff
	v_bfi_b32 v8, s6, v19, v18
	v_pk_fma_f16 v0, v20, 2.0, v8 op_sel_hi:[1,0,1]
	v_pk_fma_f16 v22, v20, 2.0, v8 op_sel_hi:[1,0,1] neg_lo:[1,0,0] neg_hi:[1,0,0]
	v_pk_mul_f16 v8, v15, s2 op_sel_hi:[1,0]
	v_pk_fma_f16 v8, v12, s3, v8 op_sel_hi:[1,0,1] neg_lo:[0,0,1] neg_hi:[0,0,1]
	v_pk_fma_f16 v8, v17, s14, v8 op_sel_hi:[1,0,1] neg_lo:[1,0,0] neg_hi:[1,0,0]
	v_pk_fma_f16 v23, v14, s9, v8 op_sel_hi:[1,0,1]
	v_pk_fma_f16 v8, v13, s7, v3 op_sel_hi:[1,0,1]
	;; [unrolled: 1-line block ×3, first 2 shown]
	v_pk_fma_f16 v8, v16, 0.5, v8 op_sel_hi:[1,0,1] neg_lo:[1,0,0] neg_hi:[1,0,0]
	v_pk_fma_f16 v8, v2, s15, v8 op_sel_hi:[1,0,1] neg_lo:[1,0,0] neg_hi:[1,0,0]
	v_pk_add_f16 v21, v8, v23 op_sel:[0,1] op_sel_hi:[1,0]
	v_pk_add_f16 v20, v8, v23 op_sel:[0,1] op_sel_hi:[1,0] neg_lo:[0,1] neg_hi:[0,1]
	v_lshrrev_b32_e32 v8, 16, v23
	v_lshrrev_b32_e32 v24, 16, v21
	v_fma_f16 v8, v8, 2.0, v20
	v_fma_f16 v23, v23, -2.0, v24
	s_and_saveexec_b64 s[2:3], s[0:1]
	s_cbranch_execz .LBB0_13
; %bb.12:
	v_pk_add_f16 v25, v2, v1
	v_pk_add_f16 v26, v16, v25
	;; [unrolled: 1-line block ×4, first 2 shown]
	v_bfi_b32 v20, s6, v20, v21
	v_mad_u32_u24 v21, v6, 36, 0
	v_pk_add_f16 v7, v3, v7
	v_alignbit_b32 v11, v19, v18, 16
	s_mov_b32 s0, 0xbbe1
	ds_write2_b32 v21, v7, v11 offset1:1
	v_pk_add_f16 v7, v15, v12
	v_pk_mul_f16 v15, v15, s0 op_sel_hi:[1,0]
	s_mov_b32 s0, 0xb924
	v_pk_fma_f16 v2, v2, s7, v3 op_sel_hi:[1,0,1]
	v_pk_mul_f16 v17, v17, s14 op_sel_hi:[1,0]
	v_pk_mul_f16 v24, v16, 0.5 op_sel_hi:[1,0]
	v_pk_add_f16 v7, v7, v14 neg_lo:[0,1] neg_hi:[0,1]
	v_pk_fma_f16 v14, v14, s0, v15 op_sel_hi:[1,0,1]
	v_pk_fma_f16 v2, v13, s8, v2 op_sel_hi:[1,0,1]
	v_pk_add_f16 v11, v3, v16
	v_pk_add_f16 v16, v13, v25
	;; [unrolled: 1-line block ×3, first 2 shown]
	v_pk_add_f16 v2, v2, v24 neg_lo:[0,1] neg_hi:[0,1]
	s_mov_b32 s0, 0xbb84
	v_pk_mul_f16 v7, v7, s14 op_sel_hi:[1,0]
	v_pk_fma_f16 v11, v16, -0.5, v11 op_sel_hi:[1,0,1]
	v_pk_fma_f16 v12, v12, s9, v14 op_sel_hi:[1,0,1]
	v_pk_fma_f16 v1, v1, s0, v2 op_sel_hi:[1,0,1]
	v_pk_add_f16 v16, v11, v7 op_sel:[0,1] op_sel_hi:[1,0] neg_lo:[0,1] neg_hi:[0,1]
	v_pk_add_f16 v11, v11, v7 op_sel:[0,1] op_sel_hi:[1,0]
	v_pk_add_f16 v2, v1, v12 op_sel:[0,1] op_sel_hi:[1,0] neg_lo:[0,1] neg_hi:[0,1]
	v_pk_add_f16 v1, v1, v12 op_sel:[0,1] op_sel_hi:[1,0]
	v_bfi_b32 v11, s6, v16, v11
	v_bfi_b32 v1, s6, v2, v1
	ds_write_b32 v21, v1 offset:16
	v_pk_fma_f16 v2, v12, 2.0, v1 op_sel:[1,0,0] op_sel_hi:[0,0,1]
	v_pk_fma_f16 v3, v7, 2.0, v11 op_sel:[1,0,0] op_sel_hi:[0,0,1]
	v_pk_fma_f16 v1, v12, 2.0, v1 op_sel:[1,0,0] op_sel_hi:[0,0,1] neg_lo:[1,0,0] neg_hi:[1,0,0]
	v_pk_fma_f16 v7, v7, 2.0, v11 op_sel:[1,0,0] op_sel_hi:[0,0,1] neg_lo:[1,0,0] neg_hi:[1,0,0]
	v_bfi_b32 v3, s6, v3, v7
	v_bfi_b32 v1, s6, v2, v1
	s_mov_b32 s0, 0x5040100
	ds_write2_b32 v21, v1, v3 offset0:5 offset1:6
	v_perm_b32 v1, v23, v8, s0
	v_alignbit_b32 v2, v22, v0, 16
	ds_write2_b32 v21, v20, v11 offset0:2 offset1:3
	ds_write2_b32 v21, v1, v2 offset0:7 offset1:8
.LBB0_13:
	s_or_b64 exec, exec, s[2:3]
	v_mov_b32_e32 v1, 57
	v_mul_lo_u16_sdwa v1, v6, v1 dst_sel:DWORD dst_unused:UNUSED_PAD src0_sel:BYTE_0 src1_sel:DWORD
	v_lshrrev_b16_e32 v30, 9, v1
	v_mul_lo_u16_e32 v1, 9, v30
	v_sub_u16_e32 v31, v6, v1
	v_mov_b32_e32 v1, 6
	v_mul_u32_u24_sdwa v1, v31, v1 dst_sel:DWORD dst_unused:UNUSED_PAD src0_sel:BYTE_0 src1_sel:DWORD
	v_lshlrev_b32_e32 v1, 2, v1
	s_load_dwordx2 s[2:3], s[4:5], 0x0
	s_waitcnt lgkmcnt(0)
	s_barrier
	global_load_dwordx4 v[11:14], v1, s[12:13]
	global_load_dwordx2 v[15:16], v1, s[12:13] offset:16
	v_lshl_add_u32 v1, v6, 2, 0
	ds_read2_b32 v[17:18], v1 offset1:117
	v_add_u32_e32 v3, 0x200, v1
	v_add_u32_e32 v2, 0x600, v1
	ds_read2_b32 v[19:20], v3 offset0:106 offset1:223
	ds_read2_b32 v[24:25], v2 offset0:84 offset1:201
	ds_read_u16 v7, v1 offset:2810
	ds_read_b32 v21, v1 offset:2808
	s_movk_i32 s0, 0x2b26
	s_waitcnt lgkmcnt(4)
	v_lshrrev_b32_e32 v26, 16, v18
	s_waitcnt lgkmcnt(3)
	v_lshrrev_b32_e32 v27, 16, v19
	v_lshrrev_b32_e32 v28, 16, v20
	s_waitcnt lgkmcnt(2)
	v_lshrrev_b32_e32 v29, 16, v24
	v_lshrrev_b32_e32 v32, 16, v25
	s_movk_i32 s1, 0x39e0
	s_mov_b32 s4, 0xb9e0
	s_waitcnt vmcnt(0) lgkmcnt(0)
	s_barrier
	v_mul_f16_sdwa v33, v12, v27 dst_sel:DWORD dst_unused:UNUSED_PAD src0_sel:WORD_1 src1_sel:DWORD
	v_mul_f16_sdwa v34, v12, v19 dst_sel:DWORD dst_unused:UNUSED_PAD src0_sel:WORD_1 src1_sel:DWORD
	;; [unrolled: 1-line block ×10, first 2 shown]
	v_mul_f16_sdwa v43, v7, v16 dst_sel:DWORD dst_unused:UNUSED_PAD src0_sel:DWORD src1_sel:WORD_1
	v_mul_f16_sdwa v44, v16, v21 dst_sel:DWORD dst_unused:UNUSED_PAD src0_sel:WORD_1 src1_sel:DWORD
	v_fma_f16 v19, v12, v19, v33
	v_fma_f16 v20, v13, v20, v35
	v_fma_f16 v12, v12, v27, -v34
	v_fma_f16 v26, v11, v26, -v37
	;; [unrolled: 1-line block ×4, first 2 shown]
	v_fma_f16 v11, v11, v18, v38
	v_fma_f16 v14, v14, v24, v40
	;; [unrolled: 1-line block ×3, first 2 shown]
	v_fma_f16 v15, v15, v32, -v42
	v_fma_f16 v21, v16, v21, v43
	v_fma_f16 v7, v7, v16, -v44
	v_add_f16_e32 v16, v11, v21
	v_add_f16_e32 v24, v26, v7
	v_sub_f16_e32 v11, v11, v21
	v_add_f16_e32 v21, v19, v18
	v_add_f16_e32 v25, v12, v15
	v_sub_f16_e32 v18, v19, v18
	v_sub_f16_e32 v12, v12, v15
	v_add_f16_e32 v15, v20, v14
	v_add_f16_e32 v19, v13, v27
	v_sub_f16_e32 v14, v14, v20
	v_sub_f16_e32 v7, v26, v7
	;; [unrolled: 1-line block ×3, first 2 shown]
	v_add_f16_e32 v20, v21, v16
	v_add_f16_e32 v26, v25, v24
	v_sub_f16_e32 v27, v21, v16
	v_sub_f16_e32 v28, v25, v24
	;; [unrolled: 1-line block ×6, first 2 shown]
	v_add_f16_e32 v29, v14, v18
	v_sub_f16_e32 v32, v14, v18
	v_sub_f16_e32 v14, v11, v14
	;; [unrolled: 1-line block ×3, first 2 shown]
	v_add_f16_e32 v15, v15, v20
	v_add_f16_e32 v19, v19, v26
	;; [unrolled: 1-line block ×3, first 2 shown]
	v_mul_f16_e32 v11, 0x3a52, v16
	v_mul_f16_e32 v16, 0x2b26, v21
	;; [unrolled: 1-line block ×4, first 2 shown]
	v_sub_f16_e32 v34, v13, v12
	v_fma_f16 v29, v21, s0, v11
	v_fma_f16 v16, v27, s1, -v16
	v_fma_f16 v27, v27, s4, -v11
	v_fma_f16 v25, v25, s0, v24
	v_fma_f16 v26, v28, s1, -v26
	v_mul_f16_e32 v11, 0x3846, v32
	s_mov_b32 s0, 0xbb00
	s_mov_b32 s1, 0xb574
	v_add_f16_e32 v33, v13, v12
	v_sub_f16_e32 v13, v7, v13
	v_sub_f16_e32 v12, v12, v7
	v_fma_f16 v24, v28, s4, -v24
	v_mul_f16_e32 v21, 0xbb00, v18
	v_fma_f16 v18, v18, s0, -v11
	v_fma_f16 v28, v14, s1, v11
	s_movk_i32 s4, 0x3574
	v_mul_f16_e32 v11, 0x3846, v34
	v_fma_f16 v14, v14, s4, -v21
	v_mul_f16_e32 v21, 0xbb00, v12
	v_fma_f16 v12, v12, s0, -v11
	v_fma_f16 v32, v13, s1, v11
	v_add_f16_e32 v11, v15, v17
	s_mov_b32 s0, 0xbcab
	v_fma_f16 v13, v13, s4, -v21
	v_add_f16_sdwa v21, v19, v17 dst_sel:DWORD dst_unused:UNUSED_PAD src0_sel:DWORD src1_sel:WORD_1
	v_fma_f16 v15, v15, s0, v11
	v_add_f16_e32 v7, v33, v7
	v_add_f16_e32 v17, v29, v15
	v_add_f16_e32 v16, v16, v15
	v_add_f16_e32 v27, v27, v15
	v_fma_f16 v15, v19, s0, v21
	s_mov_b32 s0, 0xb70e
	v_add_f16_e32 v19, v25, v15
	v_add_f16_e32 v29, v26, v15
	;; [unrolled: 1-line block ×3, first 2 shown]
	v_fma_f16 v32, v7, s0, v32
	v_fma_f16 v18, v20, s0, v18
	;; [unrolled: 1-line block ×6, first 2 shown]
	v_add_f16_e32 v13, v7, v27
	v_sub_f16_e32 v14, v16, v15
	v_add_f16_e32 v15, v15, v16
	v_sub_f16_e32 v16, v27, v7
	;; [unrolled: 2-line block ×3, first 2 shown]
	v_mov_b32_e32 v18, 2
	v_add_f16_e32 v12, v32, v17
	v_sub_f16_e32 v24, v19, v34
	v_sub_f16_e32 v7, v17, v32
	v_mul_u32_u24_e32 v17, 0xfc, v30
	v_lshlrev_b32_sdwa v18, v18, v31 dst_sel:DWORD dst_unused:UNUSED_PAD src0_sel:DWORD src1_sel:BYTE_0
	v_sub_f16_e32 v25, v33, v20
	v_add_f16_e32 v29, v34, v19
	v_add3_u32 v17, 0, v17, v18
	v_pack_b32_f16 v18, v11, v21
	v_pack_b32_f16 v19, v12, v24
	v_add_f16_e32 v28, v20, v33
	ds_write2_b32 v17, v18, v19 offset1:9
	v_pack_b32_f16 v18, v13, v25
	v_pack_b32_f16 v19, v14, v26
	ds_write2_b32 v17, v18, v19 offset0:18 offset1:27
	v_pack_b32_f16 v18, v15, v27
	v_pack_b32_f16 v19, v16, v28
	ds_write2_b32 v17, v18, v19 offset0:36 offset1:45
	v_pack_b32_f16 v18, v7, v29
	ds_write_b32 v17, v18 offset:216
	v_cmp_gt_u32_e64 s[0:1], 63, v6
	v_lshrrev_b32_e32 v17, 16, v0
	s_waitcnt lgkmcnt(0)
	s_barrier
	s_waitcnt lgkmcnt(0)
                                        ; implicit-def: $vgpr34
                                        ; implicit-def: $vgpr30
                                        ; implicit-def: $vgpr31
                                        ; implicit-def: $vgpr20
                                        ; implicit-def: $vgpr32
                                        ; implicit-def: $vgpr33
	s_and_saveexec_b64 s[4:5], s[0:1]
	s_cbranch_execnz .LBB0_16
; %bb.14:
	s_or_b64 exec, exec, s[4:5]
	s_and_b64 s[0:1], vcc, s[0:1]
	s_and_saveexec_b64 s[4:5], s[0:1]
	s_cbranch_execnz .LBB0_17
.LBB0_15:
	s_endpgm
.LBB0_16:
	ds_read2_b32 v[11:12], v1 offset1:63
	ds_read2_b32 v[13:14], v1 offset0:126 offset1:189
	ds_read2_b32 v[15:16], v3 offset0:124 offset1:187
	;; [unrolled: 1-line block ×3, first 2 shown]
	v_add_u32_e32 v2, 0x800, v1
	v_add_u32_e32 v0, 0x400, v1
	ds_read2_b32 v[19:20], v2 offset0:118 offset1:181
	ds_read2_b32 v[7:8], v0 offset0:122 offset1:185
	ds_read_b32 v30, v1 offset:3024
	s_waitcnt lgkmcnt(6)
	v_lshrrev_b32_e32 v21, 16, v11
	s_waitcnt lgkmcnt(3)
	v_lshrrev_b32_e32 v22, 16, v17
	v_lshrrev_b32_e32 v33, 16, v18
	s_waitcnt lgkmcnt(2)
	v_lshrrev_b32_e32 v32, 16, v19
	;; [unrolled: 3-line block ×3, first 2 shown]
	v_lshrrev_b32_e32 v24, 16, v12
	v_lshrrev_b32_e32 v25, 16, v13
	;; [unrolled: 1-line block ×7, first 2 shown]
	s_or_b64 exec, exec, s[4:5]
	s_and_b64 s[0:1], vcc, s[0:1]
	s_and_saveexec_b64 s[4:5], s[0:1]
	s_cbranch_execz .LBB0_15
.LBB0_17:
	v_mul_u32_u24_e32 v0, 12, v6
	v_lshlrev_b32_e32 v43, 2, v0
	global_load_dwordx4 v[0:3], v43, s[12:13] offset:248
	global_load_dwordx4 v[35:38], v43, s[12:13] offset:232
	;; [unrolled: 1-line block ×3, first 2 shown]
	v_mul_lo_u32 v43, s3, v9
	v_mul_lo_u32 v44, s2, v10
	v_mad_u64_u32 v[9:10], s[0:1], s2, v9, 0
	v_mov_b32_e32 v45, s11
	s_mov_b32 s0, 0xb9fd
	v_add3_u32 v10, v10, v44, v43
	v_lshlrev_b64 v[9:10], 2, v[9:10]
	s_movk_i32 s2, 0x2fb7
	v_add_co_u32_e32 v9, vcc, s10, v9
	v_addc_co_u32_e32 v10, vcc, v45, v10, vcc
	s_movk_i32 s4, 0x388b
	s_mov_b32 s1, 0xbbc4
	s_movk_i32 s5, 0x3b15
	s_mov_b32 s3, 0xb5ac
	;; [unrolled: 2-line block ×3, first 2 shown]
	s_mov_b32 s8, 0xb770
	s_movk_i32 s10, 0x3bf1
	s_mov_b32 s7, 0xb3a8
	s_mov_b32 s9, 0xba95
	s_movk_i32 s12, 0x33a8
	s_mov_b32 s13, 0xbb7b
	s_movk_i32 s14, 0x3a95
	s_movk_i32 s15, 0x394e
	;; [unrolled: 1-line block ×3, first 2 shown]
	s_mov_b32 s16, 0xbbf1
	s_waitcnt vmcnt(2)
	v_mul_f16_sdwa v47, v34, v3 dst_sel:DWORD dst_unused:UNUSED_PAD src0_sel:DWORD src1_sel:WORD_1
	v_mul_f16_sdwa v48, v30, v3 dst_sel:DWORD dst_unused:UNUSED_PAD src0_sel:DWORD src1_sel:WORD_1
	s_waitcnt vmcnt(0)
	v_mul_f16_sdwa v65, v12, v39 dst_sel:DWORD dst_unused:UNUSED_PAD src0_sel:DWORD src1_sel:WORD_1
	v_mul_f16_sdwa v43, v31, v2 dst_sel:DWORD dst_unused:UNUSED_PAD src0_sel:DWORD src1_sel:WORD_1
	;; [unrolled: 1-line block ×9, first 2 shown]
	v_fma_f16 v30, v30, v3, v47
	v_fma_f16 v3, v34, v3, -v48
	v_fma_f16 v24, v24, v39, -v65
	v_mul_f16_sdwa v44, v32, v1 dst_sel:DWORD dst_unused:UNUSED_PAD src0_sel:DWORD src1_sel:WORD_1
	v_mul_f16_sdwa v46, v19, v1 dst_sel:DWORD dst_unused:UNUSED_PAD src0_sel:DWORD src1_sel:WORD_1
	;; [unrolled: 1-line block ×7, first 2 shown]
	v_fma_f16 v20, v20, v2, v43
	v_fma_f16 v2, v31, v2, -v45
	v_fma_f16 v31, v33, v0, -v49
	v_fma_f16 v0, v18, v0, v50
	v_fma_f16 v18, v22, v38, -v52
	v_fma_f16 v22, v23, v37, -v55
	;; [unrolled: 1-line block ×3, first 2 shown]
	v_fma_f16 v12, v12, v39, v66
	v_sub_f16_e32 v29, v24, v3
	v_mul_f16_sdwa v59, v25, v40 dst_sel:DWORD dst_unused:UNUSED_PAD src0_sel:DWORD src1_sel:WORD_1
	v_mul_f16_sdwa v60, v26, v41 dst_sel:DWORD dst_unused:UNUSED_PAD src0_sel:DWORD src1_sel:WORD_1
	;; [unrolled: 1-line block ×6, first 2 shown]
	v_fma_f16 v19, v19, v1, v44
	v_fma_f16 v1, v32, v1, -v46
	v_fma_f16 v7, v7, v36, v53
	v_fma_f16 v8, v8, v37, v54
	v_fma_f16 v28, v28, v35, -v57
	v_fma_f16 v16, v16, v35, v58
	v_add_f16_e32 v32, v12, v30
	v_mul_f16_e32 v33, 0xb94e, v29
	v_mul_f16_e32 v34, 0xb3a8, v29
	;; [unrolled: 1-line block ×6, first 2 shown]
	v_fma_f16 v17, v17, v38, v51
	v_fma_f16 v13, v13, v40, v59
	;; [unrolled: 1-line block ×4, first 2 shown]
	v_fma_f16 v25, v25, v40, -v61
	v_fma_f16 v26, v26, v41, -v62
	;; [unrolled: 1-line block ×4, first 2 shown]
	v_fma_f16 v34, v32, s1, v34
	v_fma_f16 v39, v32, s0, -v33
	v_fma_f16 v33, v32, s0, v33
	v_fma_f16 v40, v32, s3, v35
	v_fma_f16 v35, v32, s3, -v35
	v_fma_f16 v41, v32, s2, v36
	v_fma_f16 v36, v32, s2, -v36
	;; [unrolled: 2-line block ×4, first 2 shown]
	v_add_f16_e32 v32, v11, v39
	v_add_f16_e32 v38, v11, v38
	;; [unrolled: 1-line block ×13, first 2 shown]
	v_sub_f16_e32 v12, v12, v30
	v_mul_f16_e32 v43, 0xb94e, v12
	v_add_f16_e32 v44, v24, v3
	v_sub_f16_e32 v46, v13, v20
	v_fma_f16 v45, v44, s0, v43
	v_mul_f16_e32 v47, 0x3bf1, v46
	v_add_f16_e32 v48, v25, v2
	v_add_f16_e32 v45, v21, v45
	v_fma_f16 v49, v48, s2, v47
	v_add_f16_e32 v45, v45, v49
	v_sub_f16_e32 v49, v14, v19
	v_mul_f16_e32 v50, 0xba95, v49
	v_add_f16_e32 v51, v26, v1
	v_fma_f16 v52, v51, s4, v50
	v_add_f16_e32 v45, v45, v52
	v_sub_f16_e32 v52, v15, v0
	v_mul_f16_e32 v53, 0x33a8, v52
	;; [unrolled: 5-line block ×4, first 2 shown]
	v_add_f16_e32 v60, v23, v22
	v_fma_f16 v61, v60, s3, v59
	v_sub_f16_e32 v62, v25, v2
	v_add_f16_e32 v45, v45, v61
	v_add_f16_e32 v61, v13, v20
	v_mul_f16_e32 v63, 0x3bf1, v62
	v_fma_f16 v64, v61, s2, -v63
	v_sub_f16_e32 v65, v26, v1
	v_add_f16_e32 v32, v32, v64
	v_add_f16_e32 v64, v14, v19
	v_mul_f16_e32 v66, 0xba95, v65
	v_fma_f16 v67, v64, s4, -v66
	;; [unrolled: 5-line block ×3, first 2 shown]
	v_fma_f16 v70, v67, s1, -v69
	v_sub_f16_e32 v71, v28, v18
	v_add_f16_e32 v43, v21, v43
	v_fma_f16 v47, v48, s2, -v47
	v_add_f16_e32 v32, v32, v70
	v_add_f16_e32 v70, v16, v17
	v_mul_f16_e32 v72, 0x3770, v71
	v_add_f16_e32 v43, v43, v47
	v_fma_f16 v47, v51, s4, -v50
	v_fma_f16 v73, v70, s5, -v72
	v_sub_f16_e32 v74, v23, v22
	v_add_f16_e32 v43, v43, v47
	v_fma_f16 v47, v54, s1, -v53
	v_add_f16_e32 v32, v32, v73
	v_add_f16_e32 v73, v7, v8
	v_mul_f16_e32 v75, 0xbb7b, v74
	v_add_f16_e32 v43, v43, v47
	v_fma_f16 v47, v57, s5, -v56
	v_fma_f16 v76, v73, s3, -v75
	v_add_f16_e32 v43, v43, v47
	v_fma_f16 v47, v60, s3, -v59
	v_add_f16_e32 v32, v32, v76
	v_mul_f16_e32 v76, 0xb3a8, v12
	v_add_f16_e32 v43, v43, v47
	v_fma_f16 v47, v61, s2, v63
	v_fma_f16 v77, v44, s1, v76
	v_mul_f16_e32 v78, 0x3770, v46
	v_add_f16_e32 v33, v33, v47
	v_fma_f16 v47, v64, s4, v66
	v_add_f16_e32 v77, v21, v77
	v_fma_f16 v79, v48, s5, v78
	;; [unrolled: 2-line block ×3, first 2 shown]
	v_add_f16_e32 v77, v77, v79
	v_mul_f16_e32 v79, 0xb94e, v49
	v_add_f16_e32 v33, v33, v47
	v_fma_f16 v47, v70, s5, v72
	v_fma_f16 v80, v51, s0, v79
	v_add_f16_e32 v33, v33, v47
	v_fma_f16 v47, v73, s3, v75
	v_add_f16_e32 v77, v77, v80
	v_mul_f16_e32 v80, 0x3a95, v52
	v_add_f16_e32 v33, v33, v47
	v_mul_f16_e32 v47, 0xb5ac, v44
	v_fma_f16 v81, v54, s4, v80
	v_fma_f16 v50, v12, s11, v47
	v_mul_f16_e32 v53, 0xb9fd, v48
	v_add_f16_e32 v77, v77, v81
	v_mul_f16_e32 v81, 0xbb7b, v55
	v_add_f16_e32 v50, v21, v50
	v_fma_f16 v56, v46, s6, v53
	v_fma_f16 v82, v57, s3, v81
	v_add_f16_e32 v50, v50, v56
	v_mul_f16_e32 v56, 0x3b15, v51
	v_add_f16_e32 v77, v77, v82
	v_mul_f16_e32 v82, 0x3bf1, v58
	v_fma_f16 v59, v49, s8, v56
	v_fma_f16 v83, v60, s2, v82
	v_fma_f16 v76, v44, s1, -v76
	v_add_f16_e32 v50, v50, v59
	v_mul_f16_e32 v59, 0x2fb7, v54
	v_add_f16_e32 v77, v77, v83
	v_mul_f16_e32 v83, 0x3770, v62
	v_add_f16_e32 v76, v21, v76
	v_fma_f16 v78, v48, s5, -v78
	v_fma_f16 v63, v52, s10, v59
	v_fma_f16 v84, v61, s5, -v83
	v_add_f16_e32 v76, v76, v78
	v_fma_f16 v78, v51, s0, -v79
	v_add_f16_e32 v50, v50, v63
	v_mul_f16_e32 v63, 0xbbc4, v57
	v_add_f16_e32 v38, v38, v84
	v_mul_f16_e32 v84, 0xb94e, v65
	v_add_f16_e32 v76, v76, v78
	v_fma_f16 v78, v54, s4, -v80
	v_fma_f16 v66, v55, s7, v63
	v_fma_f16 v85, v64, s0, -v84
	v_add_f16_e32 v76, v76, v78
	v_fma_f16 v78, v57, s3, -v81
	v_add_f16_e32 v50, v50, v66
	v_mul_f16_e32 v66, 0x388b, v60
	v_add_f16_e32 v11, v11, v13
	v_add_f16_e32 v38, v38, v85
	v_mul_f16_e32 v85, 0x3a95, v68
	v_add_f16_e32 v76, v76, v78
	v_fma_f16 v78, v60, s2, -v82
	v_fma_f16 v69, v58, s9, v66
	v_add_f16_e32 v11, v11, v14
	v_fma_f16 v86, v67, s4, -v85
	v_add_f16_e32 v76, v76, v78
	v_fma_f16 v78, v61, s5, v83
	v_add_f16_e32 v50, v50, v69
	v_mul_f16_e32 v69, 0x394e, v62
	v_add_f16_e32 v11, v11, v15
	v_add_f16_e32 v38, v38, v86
	v_mul_f16_e32 v86, 0xbb7b, v71
	v_add_f16_e32 v34, v34, v78
	v_fma_f16 v78, v64, s0, v84
	v_fma_f16 v72, v61, s0, v69
	v_add_f16_e32 v11, v11, v16
	v_fma_f16 v87, v70, s3, -v86
	v_add_f16_e32 v34, v34, v78
	v_fma_f16 v78, v67, s4, v85
	v_add_f16_e32 v39, v39, v72
	v_mul_f16_e32 v72, 0x3770, v65
	v_add_f16_e32 v7, v11, v7
	v_add_f16_e32 v38, v38, v87
	v_mul_f16_e32 v87, 0x3bf1, v74
	v_add_f16_e32 v34, v34, v78
	v_fma_f16 v78, v70, s3, v86
	v_fma_f16 v75, v64, s5, v72
	v_add_f16_e32 v7, v7, v8
	v_add_f16_e32 v34, v34, v78
	v_fma_f16 v78, v73, s2, v87
	v_add_f16_e32 v39, v39, v75
	v_mul_f16_e32 v75, 0xbbf1, v68
	v_add_f16_e32 v7, v17, v7
	v_add_f16_e32 v34, v34, v78
	v_fma_f16 v78, v67, s2, v75
	v_add_f16_e32 v0, v0, v7
	v_add_f16_e32 v39, v39, v78
	v_mul_f16_e32 v78, 0x33a8, v71
	v_add_f16_e32 v0, v19, v0
	v_fma_f16 v79, v70, s1, v78
	v_add_f16_e32 v0, v20, v0
	v_add_f16_e32 v39, v39, v79
	v_mul_f16_e32 v79, 0x3a95, v74
	v_add_f16_e32 v8, v30, v0
	v_add_f16_e32 v0, v21, v24
	v_fma_f16 v80, v73, s4, v79
	v_add_f16_e32 v0, v0, v25
	v_add_f16_e32 v39, v39, v80
	v_mul_f16_e32 v80, 0x2fb7, v44
	v_add_f16_e32 v0, v0, v26
	v_fma_f16 v81, v12, s10, v80
	v_mul_f16_e32 v82, 0xbbc4, v48
	v_add_f16_e32 v0, v0, v27
	v_add_f16_e32 v81, v21, v81
	v_fma_f16 v83, v46, s12, v82
	v_add_f16_e32 v0, v0, v28
	v_add_f16_e32 v81, v81, v83
	v_mul_f16_e32 v83, 0xb5ac, v51
	v_add_f16_e32 v0, v0, v23
	v_fma_f16 v84, v49, s13, v83
	v_add_f16_e32 v0, v0, v22
	v_add_f16_e32 v81, v81, v84
	v_mul_f16_e32 v84, 0x3b15, v54
	;; [unrolled: 5-line block ×4, first 2 shown]
	v_add_f16_e32 v2, v3, v0
	v_fma_f16 v0, v12, s13, v47
	v_fma_f16 v88, v73, s2, -v87
	v_fma_f16 v87, v58, s15, v86
	v_add_f16_e32 v0, v21, v0
	v_fma_f16 v1, v46, s15, v53
	v_add_f16_e32 v81, v81, v87
	v_mul_f16_e32 v87, 0xb3a8, v62
	v_add_f16_e32 v0, v0, v1
	v_fma_f16 v1, v49, s17, v56
	v_add_f16_e32 v38, v38, v88
	v_fma_f16 v88, v61, s1, v87
	;; [unrolled: 2-line block ×3, first 2 shown]
	v_add_f16_e32 v40, v40, v88
	v_mul_f16_e32 v88, 0x3b7b, v65
	v_add_f16_e32 v0, v0, v1
	v_fma_f16 v1, v55, s12, v63
	v_fma_f16 v89, v64, s3, v88
	v_add_f16_e32 v0, v0, v1
	v_fma_f16 v1, v58, s14, v66
	v_add_f16_e32 v40, v40, v89
	v_mul_f16_e32 v89, 0x3770, v68
	v_add_f16_e32 v3, v0, v1
	v_fma_f16 v0, v61, s0, -v69
	v_fma_f16 v90, v67, s5, v89
	v_add_f16_e32 v0, v35, v0
	v_fma_f16 v1, v64, s5, -v72
	v_add_f16_e32 v40, v40, v90
	v_mul_f16_e32 v90, 0xba95, v71
	v_add_f16_e32 v0, v0, v1
	v_fma_f16 v1, v67, s2, -v75
	v_fma_f16 v91, v70, s4, v90
	v_add_f16_e32 v0, v0, v1
	v_fma_f16 v1, v70, s1, -v78
	v_add_f16_e32 v40, v40, v91
	v_mul_f16_e32 v91, 0xb94e, v74
	v_add_f16_e32 v0, v0, v1
	v_fma_f16 v1, v73, s4, -v79
	v_fma_f16 v92, v73, s0, v91
	v_add_f16_e32 v11, v0, v1
	v_fma_f16 v0, v12, s16, v80
	v_add_f16_e32 v40, v40, v92
	v_mul_f16_e32 v92, 0x388b, v44
	v_add_f16_e32 v0, v21, v0
	v_fma_f16 v1, v46, s7, v82
	v_fma_f16 v93, v12, s14, v92
	v_mul_f16_e32 v94, 0xb5ac, v48
	v_add_f16_e32 v0, v0, v1
	v_fma_f16 v1, v49, s11, v83
	v_add_f16_e32 v93, v21, v93
	v_fma_f16 v95, v46, s11, v94
	;; [unrolled: 2-line block ×3, first 2 shown]
	v_add_f16_e32 v93, v93, v95
	v_mul_f16_e32 v95, 0xbbc4, v51
	v_add_f16_e32 v0, v0, v1
	v_fma_f16 v1, v55, s9, v85
	v_fma_f16 v96, v49, s12, v95
	v_add_f16_e32 v0, v0, v1
	v_fma_f16 v1, v58, s6, v86
	v_add_f16_e32 v93, v93, v96
	v_mul_f16_e32 v96, 0xb9fd, v54
	v_add_f16_e32 v13, v0, v1
	v_fma_f16 v0, v61, s1, -v87
	v_fma_f16 v97, v52, s6, v96
	v_add_f16_e32 v0, v36, v0
	v_fma_f16 v1, v64, s3, -v88
	v_add_f16_e32 v93, v93, v97
	v_mul_f16_e32 v97, 0x2fb7, v57
	v_add_f16_e32 v0, v0, v1
	v_fma_f16 v1, v67, s5, -v89
	v_fma_f16 v98, v55, s16, v97
	v_add_f16_e32 v0, v0, v1
	v_fma_f16 v1, v70, s4, -v90
	v_add_f16_e32 v93, v93, v98
	v_mul_f16_e32 v98, 0x3b15, v60
	v_add_f16_e32 v0, v0, v1
	v_fma_f16 v1, v73, s0, -v91
	v_fma_f16 v99, v58, s8, v98
	v_add_f16_e32 v14, v0, v1
	v_fma_f16 v0, v12, s9, v92
	v_add_f16_e32 v93, v93, v99
	v_mul_f16_e32 v99, 0xbb7b, v62
	v_add_f16_e32 v0, v21, v0
	v_fma_f16 v1, v46, s13, v94
	v_fma_f16 v100, v61, s3, v99
	v_add_f16_e32 v0, v0, v1
	v_fma_f16 v1, v49, s7, v95
	v_add_f16_e32 v41, v41, v100
	v_mul_f16_e32 v100, 0xb3a8, v65
	v_add_f16_e32 v0, v0, v1
	v_fma_f16 v1, v52, s15, v96
	;; [unrolled: 7-line block ×3, first 2 shown]
	v_fma_f16 v102, v67, s0, v101
	v_add_f16_e32 v15, v0, v1
	v_fma_f16 v0, v61, s3, -v99
	v_add_f16_e32 v41, v41, v102
	v_mul_f16_e32 v102, 0x3bf1, v71
	v_add_f16_e32 v0, v37, v0
	v_fma_f16 v1, v64, s1, -v100
	v_fma_f16 v103, v70, s2, v102
	v_add_f16_e32 v0, v0, v1
	v_fma_f16 v1, v67, s0, -v101
	v_add_f16_e32 v41, v41, v103
	v_mul_f16_e32 v103, 0x3770, v74
	v_add_f16_e32 v0, v0, v1
	v_fma_f16 v1, v70, s2, -v102
	v_mul_f16_e32 v44, 0x3b15, v44
	v_add_f16_e32 v0, v0, v1
	v_fma_f16 v1, v73, s5, -v103
	v_mul_f16_e32 v48, 0x388b, v48
	v_add_f16_e32 v16, v0, v1
	v_fma_f16 v0, v12, s8, v44
	v_mul_f16_e32 v51, 0x2fb7, v51
	v_add_f16_e32 v0, v21, v0
	v_fma_f16 v1, v46, s9, v48
	;; [unrolled: 3-line block ×5, first 2 shown]
	v_fma_f16 v104, v73, s5, v103
	v_mul_f16_e32 v62, 0xba95, v62
	v_add_f16_e32 v0, v0, v1
	v_fma_f16 v1, v58, s7, v60
	v_add_f16_e32 v41, v41, v104
	v_fma_f16 v104, v12, s17, v44
	v_mul_f16_e32 v65, 0xbbf1, v65
	v_add_f16_e32 v12, v0, v1
	v_fma_f16 v0, v61, s4, -v62
	v_add_f16_e32 v104, v21, v104
	v_fma_f16 v105, v46, s14, v48
	v_mul_f16_e32 v68, 0xbb7b, v68
	v_add_f16_e32 v0, v29, v0
	v_fma_f16 v1, v64, s2, -v65
	;; [unrolled: 5-line block ×4, first 2 shown]
	v_add_f16_e32 v104, v104, v105
	v_fma_f16 v105, v55, s15, v57
	v_add_f16_e32 v0, v0, v1
	v_fma_f16 v1, v73, s1, -v74
	v_add_f16_e32 v104, v104, v105
	v_fma_f16 v105, v58, s12, v60
	v_add_f16_e32 v17, v0, v1
	v_lshlrev_b64 v[0:1], 2, v[4:5]
	v_add_f16_e32 v104, v104, v105
	v_fma_f16 v105, v61, s4, v62
	v_add_f16_e32 v42, v42, v105
	v_fma_f16 v105, v64, s2, v65
	v_mov_b32_e32 v7, 0
	v_add_co_u32_e32 v4, vcc, v9, v0
	v_add_f16_e32 v42, v42, v105
	v_fma_f16 v105, v67, s3, v68
	v_addc_co_u32_e32 v5, vcc, v10, v1, vcc
	v_lshlrev_b64 v[0:1], 2, v[6:7]
	v_add_f16_e32 v42, v42, v105
	v_fma_f16 v105, v70, s0, v71
	v_add_f16_e32 v42, v42, v105
	v_fma_f16 v105, v73, s1, v74
	v_add_co_u32_e32 v0, vcc, v4, v0
	v_add_f16_e32 v42, v42, v105
	v_addc_co_u32_e32 v1, vcc, v5, v1, vcc
	v_pack_b32_f16 v2, v8, v2
	global_store_dword v[0:1], v2, off
	v_pack_b32_f16 v2, v42, v104
	global_store_dword v[0:1], v2, off offset:252
	v_pack_b32_f16 v2, v41, v93
	global_store_dword v[0:1], v2, off offset:504
	;; [unrolled: 2-line block ×12, first 2 shown]
	s_endpgm
	.section	.rodata,"a",@progbits
	.p2align	6, 0x0
	.amdhsa_kernel fft_rtc_back_len819_factors_9_7_13_wgs_117_tpt_117_half_op_CI_CI_unitstride_sbrr_dirReg
		.amdhsa_group_segment_fixed_size 0
		.amdhsa_private_segment_fixed_size 0
		.amdhsa_kernarg_size 104
		.amdhsa_user_sgpr_count 6
		.amdhsa_user_sgpr_private_segment_buffer 1
		.amdhsa_user_sgpr_dispatch_ptr 0
		.amdhsa_user_sgpr_queue_ptr 0
		.amdhsa_user_sgpr_kernarg_segment_ptr 1
		.amdhsa_user_sgpr_dispatch_id 0
		.amdhsa_user_sgpr_flat_scratch_init 0
		.amdhsa_user_sgpr_private_segment_size 0
		.amdhsa_uses_dynamic_stack 0
		.amdhsa_system_sgpr_private_segment_wavefront_offset 0
		.amdhsa_system_sgpr_workgroup_id_x 1
		.amdhsa_system_sgpr_workgroup_id_y 0
		.amdhsa_system_sgpr_workgroup_id_z 0
		.amdhsa_system_sgpr_workgroup_info 0
		.amdhsa_system_vgpr_workitem_id 0
		.amdhsa_next_free_vgpr 106
		.amdhsa_next_free_sgpr 28
		.amdhsa_reserve_vcc 1
		.amdhsa_reserve_flat_scratch 0
		.amdhsa_float_round_mode_32 0
		.amdhsa_float_round_mode_16_64 0
		.amdhsa_float_denorm_mode_32 3
		.amdhsa_float_denorm_mode_16_64 3
		.amdhsa_dx10_clamp 1
		.amdhsa_ieee_mode 1
		.amdhsa_fp16_overflow 0
		.amdhsa_exception_fp_ieee_invalid_op 0
		.amdhsa_exception_fp_denorm_src 0
		.amdhsa_exception_fp_ieee_div_zero 0
		.amdhsa_exception_fp_ieee_overflow 0
		.amdhsa_exception_fp_ieee_underflow 0
		.amdhsa_exception_fp_ieee_inexact 0
		.amdhsa_exception_int_div_zero 0
	.end_amdhsa_kernel
	.text
.Lfunc_end0:
	.size	fft_rtc_back_len819_factors_9_7_13_wgs_117_tpt_117_half_op_CI_CI_unitstride_sbrr_dirReg, .Lfunc_end0-fft_rtc_back_len819_factors_9_7_13_wgs_117_tpt_117_half_op_CI_CI_unitstride_sbrr_dirReg
                                        ; -- End function
	.section	.AMDGPU.csdata,"",@progbits
; Kernel info:
; codeLenInByte = 6596
; NumSgprs: 32
; NumVgprs: 106
; ScratchSize: 0
; MemoryBound: 0
; FloatMode: 240
; IeeeMode: 1
; LDSByteSize: 0 bytes/workgroup (compile time only)
; SGPRBlocks: 3
; VGPRBlocks: 26
; NumSGPRsForWavesPerEU: 32
; NumVGPRsForWavesPerEU: 106
; Occupancy: 2
; WaveLimiterHint : 1
; COMPUTE_PGM_RSRC2:SCRATCH_EN: 0
; COMPUTE_PGM_RSRC2:USER_SGPR: 6
; COMPUTE_PGM_RSRC2:TRAP_HANDLER: 0
; COMPUTE_PGM_RSRC2:TGID_X_EN: 1
; COMPUTE_PGM_RSRC2:TGID_Y_EN: 0
; COMPUTE_PGM_RSRC2:TGID_Z_EN: 0
; COMPUTE_PGM_RSRC2:TIDIG_COMP_CNT: 0
	.type	__hip_cuid_b8ee1afeff8912a7,@object ; @__hip_cuid_b8ee1afeff8912a7
	.section	.bss,"aw",@nobits
	.globl	__hip_cuid_b8ee1afeff8912a7
__hip_cuid_b8ee1afeff8912a7:
	.byte	0                               ; 0x0
	.size	__hip_cuid_b8ee1afeff8912a7, 1

	.ident	"AMD clang version 19.0.0git (https://github.com/RadeonOpenCompute/llvm-project roc-6.4.0 25133 c7fe45cf4b819c5991fe208aaa96edf142730f1d)"
	.section	".note.GNU-stack","",@progbits
	.addrsig
	.addrsig_sym __hip_cuid_b8ee1afeff8912a7
	.amdgpu_metadata
---
amdhsa.kernels:
  - .args:
      - .actual_access:  read_only
        .address_space:  global
        .offset:         0
        .size:           8
        .value_kind:     global_buffer
      - .offset:         8
        .size:           8
        .value_kind:     by_value
      - .actual_access:  read_only
        .address_space:  global
        .offset:         16
        .size:           8
        .value_kind:     global_buffer
      - .actual_access:  read_only
        .address_space:  global
        .offset:         24
        .size:           8
        .value_kind:     global_buffer
      - .actual_access:  read_only
        .address_space:  global
        .offset:         32
        .size:           8
        .value_kind:     global_buffer
      - .offset:         40
        .size:           8
        .value_kind:     by_value
      - .actual_access:  read_only
        .address_space:  global
        .offset:         48
        .size:           8
        .value_kind:     global_buffer
      - .actual_access:  read_only
        .address_space:  global
        .offset:         56
        .size:           8
        .value_kind:     global_buffer
      - .offset:         64
        .size:           4
        .value_kind:     by_value
      - .actual_access:  read_only
        .address_space:  global
        .offset:         72
        .size:           8
        .value_kind:     global_buffer
      - .actual_access:  read_only
        .address_space:  global
        .offset:         80
        .size:           8
        .value_kind:     global_buffer
      - .actual_access:  read_only
        .address_space:  global
        .offset:         88
        .size:           8
        .value_kind:     global_buffer
      - .actual_access:  write_only
        .address_space:  global
        .offset:         96
        .size:           8
        .value_kind:     global_buffer
    .group_segment_fixed_size: 0
    .kernarg_segment_align: 8
    .kernarg_segment_size: 104
    .language:       OpenCL C
    .language_version:
      - 2
      - 0
    .max_flat_workgroup_size: 117
    .name:           fft_rtc_back_len819_factors_9_7_13_wgs_117_tpt_117_half_op_CI_CI_unitstride_sbrr_dirReg
    .private_segment_fixed_size: 0
    .sgpr_count:     32
    .sgpr_spill_count: 0
    .symbol:         fft_rtc_back_len819_factors_9_7_13_wgs_117_tpt_117_half_op_CI_CI_unitstride_sbrr_dirReg.kd
    .uniform_work_group_size: 1
    .uses_dynamic_stack: false
    .vgpr_count:     106
    .vgpr_spill_count: 0
    .wavefront_size: 64
amdhsa.target:   amdgcn-amd-amdhsa--gfx906
amdhsa.version:
  - 1
  - 2
...

	.end_amdgpu_metadata
